;; amdgpu-corpus repo=ROCm/rocFFT kind=compiled arch=gfx906 opt=O3
	.text
	.amdgcn_target "amdgcn-amd-amdhsa--gfx906"
	.amdhsa_code_object_version 6
	.protected	fft_rtc_fwd_len160_factors_4_10_4_wgs_192_tpt_16_half_op_CI_CI_sbcc_twdbase6_3step_dirReg_intrinsicReadWrite ; -- Begin function fft_rtc_fwd_len160_factors_4_10_4_wgs_192_tpt_16_half_op_CI_CI_sbcc_twdbase6_3step_dirReg_intrinsicReadWrite
	.globl	fft_rtc_fwd_len160_factors_4_10_4_wgs_192_tpt_16_half_op_CI_CI_sbcc_twdbase6_3step_dirReg_intrinsicReadWrite
	.p2align	8
	.type	fft_rtc_fwd_len160_factors_4_10_4_wgs_192_tpt_16_half_op_CI_CI_sbcc_twdbase6_3step_dirReg_intrinsicReadWrite,@function
fft_rtc_fwd_len160_factors_4_10_4_wgs_192_tpt_16_half_op_CI_CI_sbcc_twdbase6_3step_dirReg_intrinsicReadWrite: ; @fft_rtc_fwd_len160_factors_4_10_4_wgs_192_tpt_16_half_op_CI_CI_sbcc_twdbase6_3step_dirReg_intrinsicReadWrite
; %bb.0:
	s_load_dwordx8 s[8:15], s[4:5], 0x8
	s_load_dwordx2 s[34:35], s[4:5], 0x28
	s_movk_i32 s0, 0xc0
	v_cmp_gt_u32_e32 vcc, s0, v0
	s_and_saveexec_b64 s[0:1], vcc
	s_cbranch_execz .LBB0_2
; %bb.1:
	v_lshlrev_b32_e32 v1, 2, v0
	s_waitcnt lgkmcnt(0)
	global_load_dword v2, v1, s[8:9]
	v_add_u32_e32 v1, 0, v1
	s_waitcnt vmcnt(0)
	ds_write_b32 v1, v2 offset:7680
.LBB0_2:
	s_or_b64 exec, exec, s[0:1]
	s_waitcnt lgkmcnt(0)
	s_load_dwordx2 s[2:3], s[12:13], 0x8
	s_mov_b32 s7, 0
	s_mov_b64 s[28:29], 0
	s_waitcnt lgkmcnt(0)
	s_add_u32 s0, s2, -1
	s_addc_u32 s1, s3, -1
	s_add_u32 s8, 0, 0x55540000
	s_addc_u32 s9, 0, 0x55
	s_mul_hi_u32 s17, s8, -12
	s_add_i32 s9, s9, 0x15555500
	s_sub_i32 s17, s17, s8
	s_mul_i32 s20, s9, -12
	s_mul_i32 s16, s8, -12
	s_add_i32 s17, s17, s20
	s_mul_hi_u32 s18, s9, s16
	s_mul_i32 s19, s9, s16
	s_mul_i32 s21, s8, s17
	s_mul_hi_u32 s16, s8, s16
	s_mul_hi_u32 s20, s8, s17
	s_add_u32 s16, s16, s21
	s_addc_u32 s20, 0, s20
	s_add_u32 s16, s16, s19
	s_mul_hi_u32 s21, s9, s17
	s_addc_u32 s16, s20, s18
	s_addc_u32 s18, s21, 0
	s_mul_i32 s17, s9, s17
	s_add_u32 s16, s16, s17
	v_mov_b32_e32 v1, s16
	s_addc_u32 s17, 0, s18
	v_add_co_u32_e32 v1, vcc, s8, v1
	s_cmp_lg_u64 vcc, 0
	s_addc_u32 s8, s9, s17
	v_readfirstlane_b32 s17, v1
	s_mul_i32 s16, s0, s8
	s_mul_hi_u32 s18, s0, s17
	s_mul_hi_u32 s9, s0, s8
	s_add_u32 s16, s18, s16
	s_addc_u32 s9, 0, s9
	s_mul_hi_u32 s19, s1, s17
	s_mul_i32 s17, s1, s17
	s_add_u32 s16, s16, s17
	s_mul_hi_u32 s18, s1, s8
	s_addc_u32 s9, s9, s19
	s_addc_u32 s16, s18, 0
	s_mul_i32 s8, s1, s8
	s_add_u32 s8, s9, s8
	s_addc_u32 s9, 0, s16
	s_add_u32 s16, s8, 1
	s_addc_u32 s17, s9, 0
	s_add_u32 s18, s8, 2
	s_mul_i32 s20, s9, 12
	s_mul_hi_u32 s21, s8, 12
	s_addc_u32 s19, s9, 0
	s_add_i32 s21, s21, s20
	s_mul_i32 s20, s8, 12
	v_mov_b32_e32 v1, s20
	v_sub_co_u32_e32 v1, vcc, s0, v1
	s_cmp_lg_u64 vcc, 0
	s_subb_u32 s0, s1, s21
	v_subrev_co_u32_e32 v2, vcc, 12, v1
	s_cmp_lg_u64 vcc, 0
	s_subb_u32 s1, s0, 0
	v_readfirstlane_b32 s20, v2
	s_cmp_gt_u32 s20, 11
	s_cselect_b32 s20, -1, 0
	s_cmp_eq_u32 s1, 0
	s_cselect_b32 s1, s20, -1
	s_cmp_lg_u32 s1, 0
	s_cselect_b32 s1, s18, s16
	s_cselect_b32 s16, s19, s17
	v_readfirstlane_b32 s17, v1
	s_cmp_gt_u32 s17, 11
	s_cselect_b32 s17, -1, 0
	s_cmp_eq_u32 s0, 0
	s_cselect_b32 s0, s17, -1
	s_cmp_lg_u32 s0, 0
	s_cselect_b32 s1, s1, s8
	s_cselect_b32 s0, s16, s9
	s_add_u32 s8, s1, 1
	s_addc_u32 s9, s0, 0
	v_mov_b32_e32 v1, s8
	v_mov_b32_e32 v2, s9
	v_cmp_lt_u64_e32 vcc, s[6:7], v[1:2]
	s_cbranch_vccnz .LBB0_4
; %bb.3:
	v_cvt_f32_u32_e32 v1, s8
	s_sub_i32 s0, 0, s8
	s_mov_b32 s29, s7
	v_rcp_iflag_f32_e32 v1, v1
	v_mul_f32_e32 v1, 0x4f7ffffe, v1
	v_cvt_u32_f32_e32 v1, v1
	v_readfirstlane_b32 s1, v1
	s_mul_i32 s0, s0, s1
	s_mul_hi_u32 s0, s1, s0
	s_add_i32 s1, s1, s0
	s_mul_hi_u32 s0, s6, s1
	s_mul_i32 s16, s0, s8
	s_sub_i32 s16, s6, s16
	s_add_i32 s1, s0, 1
	s_sub_i32 s17, s16, s8
	s_cmp_ge_u32 s16, s8
	s_cselect_b32 s0, s1, s0
	s_cselect_b32 s16, s17, s16
	s_add_i32 s1, s0, 1
	s_cmp_ge_u32 s16, s8
	s_cselect_b32 s28, s1, s0
.LBB0_4:
	s_mul_i32 s0, s28, s9
	s_mul_hi_u32 s1, s28, s8
	s_add_i32 s1, s1, s0
	s_mul_i32 s0, s28, s8
	s_load_dwordx4 s[20:23], s[4:5], 0x60
	s_load_dwordx2 s[30:31], s[4:5], 0x0
	s_load_dwordx4 s[24:27], s[14:15], 0x0
	s_load_dwordx4 s[16:19], s[34:35], 0x0
	s_sub_u32 s33, s6, s0
	s_subb_u32 s0, 0, s1
	s_mul_i32 s0, s0, 12
	s_waitcnt lgkmcnt(0)
	s_mul_hi_u32 s25, s33, 12
	s_add_i32 s25, s25, s0
	s_mul_i32 s33, s33, 12
	s_mul_i32 s0, s26, s25
	s_mul_hi_u32 s1, s26, s33
	s_add_i32 s0, s1, s0
	s_mul_i32 s1, s27, s33
	s_add_i32 s46, s0, s1
	s_mul_i32 s0, s18, s25
	s_mul_hi_u32 s1, s18, s33
	s_add_i32 s0, s1, s0
	s_mul_i32 s1, s19, s33
	s_add_i32 s19, s0, s1
	v_cmp_lt_u64_e64 s[0:1], s[10:11], 3
	s_mul_i32 s27, s26, s33
	s_mul_i32 s17, s18, s33
	s_and_b64 vcc, exec, s[0:1]
	s_cbranch_vccnz .LBB0_14
; %bb.5:
	s_add_u32 s4, s34, 16
	s_addc_u32 s5, s35, 0
	s_add_u32 s36, s14, 16
	s_addc_u32 s37, s15, 0
	s_add_u32 s12, s12, 16
	v_mov_b32_e32 v1, s10
	s_addc_u32 s13, s13, 0
	s_mov_b64 s[38:39], 2
	s_mov_b32 s40, 0
	v_mov_b32_e32 v2, s11
.LBB0_6:                                ; =>This Inner Loop Header: Depth=1
	s_load_dwordx2 s[42:43], s[12:13], 0x0
	s_waitcnt lgkmcnt(0)
	s_or_b64 s[0:1], s[28:29], s[42:43]
	s_mov_b32 s41, s1
	s_cmp_lg_u64 s[40:41], 0
	s_cbranch_scc0 .LBB0_11
; %bb.7:                                ;   in Loop: Header=BB0_6 Depth=1
	v_cvt_f32_u32_e32 v3, s42
	v_cvt_f32_u32_e32 v4, s43
	s_sub_u32 s0, 0, s42
	s_subb_u32 s1, 0, s43
	v_mac_f32_e32 v3, 0x4f800000, v4
	v_rcp_f32_e32 v3, v3
	v_mul_f32_e32 v3, 0x5f7ffffc, v3
	v_mul_f32_e32 v4, 0x2f800000, v3
	v_trunc_f32_e32 v4, v4
	v_mac_f32_e32 v3, 0xcf800000, v4
	v_cvt_u32_f32_e32 v4, v4
	v_cvt_u32_f32_e32 v3, v3
	v_readfirstlane_b32 s41, v4
	v_readfirstlane_b32 s44, v3
	s_mul_i32 s45, s0, s41
	s_mul_hi_u32 s48, s0, s44
	s_mul_i32 s47, s1, s44
	s_add_i32 s45, s48, s45
	s_mul_i32 s49, s0, s44
	s_add_i32 s45, s45, s47
	s_mul_hi_u32 s47, s44, s45
	s_mul_i32 s48, s44, s45
	s_mul_hi_u32 s44, s44, s49
	s_add_u32 s44, s44, s48
	s_addc_u32 s47, 0, s47
	s_mul_hi_u32 s50, s41, s49
	s_mul_i32 s49, s41, s49
	s_add_u32 s44, s44, s49
	s_mul_hi_u32 s48, s41, s45
	s_addc_u32 s44, s47, s50
	s_addc_u32 s47, s48, 0
	s_mul_i32 s45, s41, s45
	s_add_u32 s44, s44, s45
	s_addc_u32 s45, 0, s47
	v_add_co_u32_e32 v3, vcc, s44, v3
	s_cmp_lg_u64 vcc, 0
	s_addc_u32 s41, s41, s45
	v_readfirstlane_b32 s45, v3
	s_mul_i32 s44, s0, s41
	s_mul_hi_u32 s47, s0, s45
	s_add_i32 s44, s47, s44
	s_mul_i32 s1, s1, s45
	s_add_i32 s44, s44, s1
	s_mul_i32 s0, s0, s45
	s_mul_hi_u32 s47, s41, s0
	s_mul_i32 s48, s41, s0
	s_mul_i32 s50, s45, s44
	s_mul_hi_u32 s0, s45, s0
	s_mul_hi_u32 s49, s45, s44
	s_add_u32 s0, s0, s50
	s_addc_u32 s45, 0, s49
	s_add_u32 s0, s0, s48
	s_mul_hi_u32 s1, s41, s44
	s_addc_u32 s0, s45, s47
	s_addc_u32 s1, s1, 0
	s_mul_i32 s44, s41, s44
	s_add_u32 s0, s0, s44
	s_addc_u32 s1, 0, s1
	v_add_co_u32_e32 v3, vcc, s0, v3
	s_cmp_lg_u64 vcc, 0
	s_addc_u32 s0, s41, s1
	v_readfirstlane_b32 s44, v3
	s_mul_i32 s41, s28, s0
	s_mul_hi_u32 s45, s28, s44
	s_mul_hi_u32 s1, s28, s0
	s_add_u32 s41, s45, s41
	s_addc_u32 s1, 0, s1
	s_mul_hi_u32 s47, s29, s44
	s_mul_i32 s44, s29, s44
	s_add_u32 s41, s41, s44
	s_mul_hi_u32 s45, s29, s0
	s_addc_u32 s1, s1, s47
	s_addc_u32 s41, s45, 0
	s_mul_i32 s0, s29, s0
	s_add_u32 s44, s1, s0
	s_addc_u32 s41, 0, s41
	s_mul_i32 s0, s42, s41
	s_mul_hi_u32 s1, s42, s44
	s_add_i32 s0, s1, s0
	s_mul_i32 s1, s43, s44
	s_add_i32 s45, s0, s1
	s_mul_i32 s1, s42, s44
	v_mov_b32_e32 v3, s1
	s_sub_i32 s0, s29, s45
	v_sub_co_u32_e32 v3, vcc, s28, v3
	s_cmp_lg_u64 vcc, 0
	s_subb_u32 s47, s0, s43
	v_subrev_co_u32_e64 v4, s[0:1], s42, v3
	s_cmp_lg_u64 s[0:1], 0
	s_subb_u32 s0, s47, 0
	s_cmp_ge_u32 s0, s43
	v_readfirstlane_b32 s47, v4
	s_cselect_b32 s1, -1, 0
	s_cmp_ge_u32 s47, s42
	s_cselect_b32 s47, -1, 0
	s_cmp_eq_u32 s0, s43
	s_cselect_b32 s0, s47, s1
	s_add_u32 s1, s44, 1
	s_addc_u32 s47, s41, 0
	s_add_u32 s48, s44, 2
	s_addc_u32 s49, s41, 0
	s_cmp_lg_u32 s0, 0
	s_cselect_b32 s0, s48, s1
	s_cselect_b32 s1, s49, s47
	s_cmp_lg_u64 vcc, 0
	s_subb_u32 s45, s29, s45
	s_cmp_ge_u32 s45, s43
	v_readfirstlane_b32 s48, v3
	s_cselect_b32 s47, -1, 0
	s_cmp_ge_u32 s48, s42
	s_cselect_b32 s48, -1, 0
	s_cmp_eq_u32 s45, s43
	s_cselect_b32 s45, s48, s47
	s_cmp_lg_u32 s45, 0
	s_cselect_b32 s1, s1, s41
	s_cselect_b32 s0, s0, s44
	s_cbranch_execnz .LBB0_9
.LBB0_8:                                ;   in Loop: Header=BB0_6 Depth=1
	v_cvt_f32_u32_e32 v3, s42
	s_sub_i32 s0, 0, s42
	v_rcp_iflag_f32_e32 v3, v3
	v_mul_f32_e32 v3, 0x4f7ffffe, v3
	v_cvt_u32_f32_e32 v3, v3
	v_readfirstlane_b32 s1, v3
	s_mul_i32 s0, s0, s1
	s_mul_hi_u32 s0, s1, s0
	s_add_i32 s1, s1, s0
	s_mul_hi_u32 s0, s28, s1
	s_mul_i32 s41, s0, s42
	s_sub_i32 s41, s28, s41
	s_add_i32 s1, s0, 1
	s_sub_i32 s44, s41, s42
	s_cmp_ge_u32 s41, s42
	s_cselect_b32 s0, s1, s0
	s_cselect_b32 s41, s44, s41
	s_add_i32 s1, s0, 1
	s_cmp_ge_u32 s41, s42
	s_cselect_b32 s0, s1, s0
	s_mov_b32 s1, s40
.LBB0_9:                                ;   in Loop: Header=BB0_6 Depth=1
	s_mul_i32 s9, s42, s9
	s_mul_hi_u32 s41, s42, s8
	s_add_i32 s9, s41, s9
	s_mul_i32 s41, s43, s8
	s_add_i32 s9, s9, s41
	s_mul_i32 s41, s0, s43
	s_mul_hi_u32 s43, s0, s42
	s_load_dwordx2 s[44:45], s[36:37], 0x0
	s_add_i32 s41, s43, s41
	s_mul_i32 s43, s1, s42
	s_mul_i32 s8, s42, s8
	s_add_i32 s41, s41, s43
	s_mul_i32 s42, s0, s42
	s_sub_u32 s42, s28, s42
	s_subb_u32 s41, s29, s41
	s_waitcnt lgkmcnt(0)
	s_mul_i32 s28, s44, s41
	s_mul_hi_u32 s29, s44, s42
	s_add_i32 s43, s29, s28
	s_load_dwordx2 s[28:29], s[4:5], 0x0
	s_mul_i32 s45, s45, s42
	s_add_i32 s43, s43, s45
	s_mul_i32 s44, s44, s42
	s_add_u32 s27, s44, s27
	s_addc_u32 s46, s43, s46
	s_waitcnt lgkmcnt(0)
	s_mul_i32 s41, s28, s41
	s_mul_hi_u32 s43, s28, s42
	s_add_i32 s41, s43, s41
	s_mul_i32 s29, s29, s42
	s_add_i32 s41, s41, s29
	s_mul_i32 s28, s28, s42
	s_add_u32 s17, s28, s17
	s_addc_u32 s19, s41, s19
	s_add_u32 s38, s38, 1
	s_addc_u32 s39, s39, 0
	;; [unrolled: 2-line block ×4, first 2 shown]
	v_cmp_ge_u64_e32 vcc, s[38:39], v[1:2]
	s_add_u32 s12, s12, 8
	s_addc_u32 s13, s13, 0
	s_cbranch_vccnz .LBB0_12
; %bb.10:                               ;   in Loop: Header=BB0_6 Depth=1
	s_mov_b64 s[28:29], s[0:1]
	s_branch .LBB0_6
.LBB0_11:                               ;   in Loop: Header=BB0_6 Depth=1
                                        ; implicit-def: $sgpr0_sgpr1
	s_branch .LBB0_8
.LBB0_12:
	v_mov_b32_e32 v1, s8
	v_mov_b32_e32 v2, s9
	v_cmp_lt_u64_e32 vcc, s[6:7], v[1:2]
	s_mov_b64 s[28:29], 0
	s_cbranch_vccnz .LBB0_14
; %bb.13:
	v_cvt_f32_u32_e32 v1, s8
	s_sub_i32 s0, 0, s8
	v_rcp_iflag_f32_e32 v1, v1
	v_mul_f32_e32 v1, 0x4f7ffffe, v1
	v_cvt_u32_f32_e32 v1, v1
	v_readfirstlane_b32 s1, v1
	s_mul_i32 s0, s0, s1
	s_mul_hi_u32 s0, s1, s0
	s_add_i32 s1, s1, s0
	s_mul_hi_u32 s0, s6, s1
	s_mul_i32 s4, s0, s8
	s_sub_i32 s4, s6, s4
	s_add_i32 s1, s0, 1
	s_sub_i32 s5, s4, s8
	s_cmp_ge_u32 s4, s8
	s_cselect_b32 s0, s1, s0
	s_cselect_b32 s4, s5, s4
	s_add_i32 s1, s0, 1
	s_cmp_ge_u32 s4, s8
	s_cselect_b32 s28, s1, s0
.LBB0_14:
	s_lshl_b64 s[0:1], s[10:11], 3
	s_add_u32 s4, s14, s0
	s_addc_u32 s5, s15, s1
	s_mov_b32 s6, 0x15555556
	s_load_dword s4, s[4:5], 0x0
	v_mul_hi_u32 v8, v0, s6
	v_mov_b32_e32 v2, s25
	v_mov_b32_e32 v4, s3
	;; [unrolled: 1-line block ×3, first 2 shown]
	v_mul_u32_u24_e32 v1, 12, v8
	s_waitcnt lgkmcnt(0)
	s_mul_i32 s4, s4, s28
	v_sub_u32_e32 v9, v0, v1
	s_add_i32 s4, s4, s27
	s_add_u32 s6, s34, s0
	v_mul_lo_u32 v5, s26, v9
	v_mul_lo_u32 v6, s24, v8
	s_addc_u32 s7, s35, s1
	v_add_co_u32_e32 v1, vcc, s33, v9
	v_addc_co_u32_e32 v2, vcc, 0, v2, vcc
	s_add_u32 s0, s33, 12
	s_addc_u32 s1, s25, 0
	v_cmp_gt_u64_e32 vcc, s[2:3], v[1:2]
	s_movk_i32 s2, 0x60
	s_movk_i32 s3, 0x5f
	v_cmp_le_u64_e64 s[0:1], s[0:1], v[3:4]
	v_add_lshl_u32 v3, v5, v6, 2
	s_lshl_b32 s12, s4, 2
	v_add_u32_e32 v10, 40, v8
	v_add_u32_e32 v6, 0x50, v8
	;; [unrolled: 1-line block ×3, first 2 shown]
	v_cmp_lt_u32_e64 s[4:5], s3, v0
	v_cmp_gt_u32_e64 s[2:3], s2, v0
	v_add_u32_e32 v0, 16, v8
	v_mul_lo_u32 v4, s24, v10
	v_mul_lo_u32 v6, s24, v6
	v_mul_lo_u32 v7, s24, v7
	v_mul_lo_u32 v11, s24, v0
	v_cndmask_b32_e64 v2, 0, 1, vcc
	s_or_b64 vcc, s[0:1], vcc
	v_cndmask_b32_e32 v3, -1, v3, vcc
	s_mov_b32 s11, 0x20000
	s_mov_b32 s10, -2
	s_mov_b32 s8, s20
	s_mov_b32 s9, s21
	v_add_lshl_u32 v4, v5, v4, 2
	v_add_lshl_u32 v6, v5, v6, 2
	;; [unrolled: 1-line block ×4, first 2 shown]
	v_cndmask_b32_e32 v4, -1, v4, vcc
	v_cndmask_b32_e32 v6, -1, v6, vcc
	;; [unrolled: 1-line block ×3, first 2 shown]
	buffer_load_dword v12, v3, s[8:11], s12 offen
	buffer_load_dword v13, v4, s[8:11], s12 offen
	buffer_load_dword v14, v6, s[8:11], s12 offen
	buffer_load_dword v15, v7, s[8:11], s12 offen
	v_cndmask_b32_e64 v3, 0, 1, s[2:3]
	v_cndmask_b32_e32 v16, -1, v11, vcc
	s_or_b64 s[0:1], s[4:5], s[0:1]
	v_or_b32_e32 v11, 32, v8
	v_add_u32_e32 v17, 0x48, v8
	v_add_u32_e32 v18, 0x70, v8
	v_cndmask_b32_e64 v2, v2, v3, s[0:1]
	v_add_u32_e32 v3, 0x98, v8
	v_mul_lo_u32 v19, s24, v11
	v_add_u32_e32 v4, 56, v8
	v_or_b32_e32 v6, 0x60, v8
	v_add_u32_e32 v7, 0x88, v8
	v_mul_lo_u32 v17, s24, v17
	v_mul_lo_u32 v18, s24, v18
	;; [unrolled: 1-line block ×6, first 2 shown]
	v_and_b32_e32 v2, 1, v2
	v_add_lshl_u32 v19, v5, v19, 2
	v_cmp_eq_u32_e64 s[0:1], 1, v2
	v_add_lshl_u32 v17, v5, v17, 2
	v_add_lshl_u32 v18, v5, v18, 2
	v_add_lshl_u32 v3, v5, v3, 2
	v_cndmask_b32_e64 v2, -1, v19, s[0:1]
	v_add_lshl_u32 v4, v5, v4, 2
	v_add_lshl_u32 v6, v5, v6, 2
	;; [unrolled: 1-line block ×3, first 2 shown]
	v_cndmask_b32_e64 v5, -1, v17, s[0:1]
	v_cndmask_b32_e64 v17, -1, v18, s[0:1]
	buffer_load_dword v18, v2, s[8:11], s12 offen
	buffer_load_dword v19, v5, s[8:11], s12 offen
	buffer_load_dword v20, v17, s[8:11], s12 offen
	v_cndmask_b32_e64 v2, -1, v3, s[0:1]
	buffer_load_dword v5, v2, s[8:11], s12 offen
	v_cndmask_b32_e32 v2, -1, v4, vcc
	v_cndmask_b32_e32 v3, -1, v6, vcc
	buffer_load_dword v17, v16, s[8:11], s12 offen
	buffer_load_dword v21, v2, s[8:11], s12 offen
	;; [unrolled: 1-line block ×3, first 2 shown]
	v_cndmask_b32_e32 v2, -1, v7, vcc
	buffer_load_dword v16, v2, s[8:11], s12 offen
	v_mul_u32_u24_e32 v2, 48, v8
	v_lshl_add_u32 v4, v2, 2, 0
	s_mov_b32 s8, 0xffff
	s_load_dwordx2 s[6:7], s[6:7], 0x0
	s_waitcnt vmcnt(9)
	v_pk_add_f16 v2, v12, v14 neg_lo:[0,1] neg_hi:[0,1]
	s_waitcnt vmcnt(8)
	v_pk_add_f16 v3, v13, v15 op_sel:[1,1] op_sel_hi:[0,0] neg_lo:[0,1] neg_hi:[0,1]
	v_pk_add_f16 v6, v2, v3 neg_lo:[0,1] neg_hi:[0,1]
	v_pk_add_f16 v7, v2, v3
	v_pk_fma_f16 v12, v12, 2.0, v2 op_sel_hi:[1,0,1] neg_lo:[0,0,1] neg_hi:[0,0,1]
	v_pk_fma_f16 v3, v13, 2.0, v3 op_sel:[1,0,0] op_sel_hi:[0,0,1] neg_lo:[0,0,1] neg_hi:[0,0,1]
	v_pk_add_f16 v13, v12, v3 op_sel:[0,1] op_sel_hi:[1,0] neg_lo:[0,1] neg_hi:[0,1]
	v_bfi_b32 v7, s8, v6, v7
	v_lshrrev_b32_e32 v3, 16, v12
	v_lshrrev_b32_e32 v6, 16, v13
	v_fma_f16 v3, v3, 2.0, -v6
	v_lshlrev_b32_e32 v14, 2, v9
	v_fma_f16 v6, v12, 2.0, -v13
	v_lshlrev_b32_e32 v3, 16, v3
	v_or_b32_sdwa v3, v3, v6 dst_sel:DWORD dst_unused:UNUSED_PAD src0_sel:DWORD src1_sel:WORD_0
	v_add_u32_e32 v12, v4, v14
	v_pk_fma_f16 v2, v2, 2.0, v7 op_sel_hi:[1,0,1] neg_lo:[0,0,1] neg_hi:[0,0,1]
	ds_write2_b32 v12, v3, v2 offset1:12
	ds_write2_b32 v12, v13, v7 offset0:24 offset1:36
	s_waitcnt vmcnt(5)
	v_pk_add_f16 v3, v18, v20 neg_lo:[0,1] neg_hi:[0,1]
	v_pk_fma_f16 v2, v18, 2.0, v3 op_sel_hi:[1,0,1] neg_lo:[0,0,1] neg_hi:[0,0,1]
	s_waitcnt vmcnt(4)
	v_pk_add_f16 v5, v19, v5 neg_lo:[0,1] neg_hi:[0,1]
	v_pk_fma_f16 v6, v19, 2.0, v5 op_sel_hi:[1,0,1] neg_lo:[0,0,1] neg_hi:[0,0,1]
	v_pk_add_f16 v12, v3, v5 op_sel:[0,1] op_sel_hi:[1,0] neg_lo:[0,1] neg_hi:[0,1]
	v_pk_add_f16 v7, v3, v5 op_sel:[0,1] op_sel_hi:[1,0]
	s_waitcnt vmcnt(1)
	v_pk_add_f16 v5, v17, v22 neg_lo:[0,1] neg_hi:[0,1]
	s_waitcnt vmcnt(0)
	v_pk_add_f16 v15, v21, v16 neg_lo:[0,1] neg_hi:[0,1]
	v_pk_fma_f16 v13, v17, 2.0, v5 op_sel_hi:[1,0,1] neg_lo:[0,0,1] neg_hi:[0,0,1]
	v_alignbit_b32 v17, s0, v15, 16
	v_alignbit_b32 v18, s0, v5, 16
	v_pk_fma_f16 v16, v21, 2.0, v15 op_sel_hi:[1,0,1] neg_lo:[0,0,1] neg_hi:[0,0,1]
	v_pk_add_f16 v17, v5, v17 neg_lo:[0,1] neg_hi:[0,1]
	v_pk_add_f16 v15, v18, v15
	v_lshrrev_b32_e32 v18, 16, v5
	v_fma_f16 v5, v5, 2.0, -v17
	v_fma_f16 v18, v18, 2.0, -v15
	v_pack_b32_f16 v18, v5, v18
	v_add_u32_e32 v5, 0xc00, v4
	v_pk_add_f16 v16, v13, v16 neg_lo:[0,1] neg_hi:[0,1]
	v_add_u32_e32 v14, v5, v14
	v_pk_fma_f16 v13, v13, 2.0, v16 op_sel_hi:[1,0,1] neg_lo:[0,0,1] neg_hi:[0,0,1]
	ds_write2_b32 v14, v13, v18 offset1:12
	v_pack_b32_f16 v13, v17, v15
	ds_write2_b32 v14, v16, v13 offset0:24 offset1:36
	v_lshrrev_b32_e32 v13, 16, v7
	s_and_saveexec_b64 s[8:9], s[4:5]
	s_xor_b64 s[4:5], exec, s[8:9]
; %bb.15:
                                        ; implicit-def: $vgpr7
                                        ; implicit-def: $vgpr3
; %bb.16:
	s_or_saveexec_b64 s[4:5], s[4:5]
	v_pk_add_f16 v14, v2, v6 neg_lo:[0,1] neg_hi:[0,1]
	s_xor_b64 exec, exec, s[4:5]
	s_cbranch_execz .LBB0_18
; %bb.17:
	s_waitcnt lgkmcnt(0)
	s_mov_b32 s7, 0xffff
	v_bfi_b32 v6, s7, v12, v7
	v_lshl_add_u32 v7, v9, 2, v5
	v_pk_fma_f16 v2, v2, 2.0, v14 op_sel_hi:[1,0,1] neg_lo:[0,0,1] neg_hi:[0,0,1]
	v_pk_fma_f16 v3, v3, 2.0, v6 op_sel_hi:[1,0,1] neg_lo:[0,0,1] neg_hi:[0,0,1]
	v_add_u32_e32 v7, 0xc00, v7
	ds_write2_b32 v7, v2, v3 offset1:12
	ds_write2_b32 v7, v14, v6 offset0:24 offset1:36
.LBB0_18:
	s_or_b64 exec, exec, s[4:5]
	v_and_b32_e32 v2, 3, v8
	v_mul_u32_u24_e32 v3, 9, v2
	v_lshlrev_b32_e32 v7, 2, v3
	s_waitcnt lgkmcnt(0)
	s_barrier
	global_load_dwordx4 v[17:20], v7, s[30:31]
	global_load_dwordx4 v[21:24], v7, s[30:31] offset:16
	v_mul_i32_i24_e32 v15, 0xffffff70, v8
	v_lshlrev_b32_e32 v3, 2, v9
	v_mul_i32_i24_e32 v6, 0xffffff70, v0
	v_add3_u32 v16, v5, v6, v3
	v_add3_u32 v15, v4, v15, v3
	ds_read2st64_b32 v[5:6], v16 offset1:3
	ds_read2st64_b32 v[25:26], v15 offset1:9
	ds_read2st64_b32 v[27:28], v15 offset0:12 offset1:15
	global_load_dword v7, v7, s[30:31] offset:32
	s_movk_i32 s7, 0x3b9c
	s_mov_b32 s8, 0xbb9c
	s_waitcnt lgkmcnt(2)
	v_lshrrev_b32_e32 v4, 16, v5
	v_lshrrev_b32_e32 v29, 16, v6
	s_waitcnt lgkmcnt(1)
	v_lshrrev_b32_e32 v30, 16, v26
	s_waitcnt lgkmcnt(0)
	v_lshrrev_b32_e32 v31, 16, v27
	s_movk_i32 s4, 0x38b4
	s_mov_b32 s5, 0xb8b4
	s_movk_i32 s9, 0x34f2
	s_movk_i32 s10, 0x3a79
	s_waitcnt vmcnt(2)
	v_mul_f16_sdwa v32, v17, v4 dst_sel:DWORD dst_unused:UNUSED_PAD src0_sel:WORD_1 src1_sel:DWORD
	v_mul_f16_sdwa v33, v17, v5 dst_sel:DWORD dst_unused:UNUSED_PAD src0_sel:WORD_1 src1_sel:DWORD
	;; [unrolled: 1-line block ×3, first 2 shown]
	v_fma_f16 v32, v17, v5, -v32
	v_mul_f16_sdwa v5, v18, v6 dst_sel:DWORD dst_unused:UNUSED_PAD src0_sel:WORD_1 src1_sel:DWORD
	v_fma_f16 v17, v17, v4, v33
	v_mul_f16_sdwa v4, v19, v26 dst_sel:DWORD dst_unused:UNUSED_PAD src0_sel:WORD_1 src1_sel:DWORD
	v_fma_f16 v34, v18, v6, -v34
	v_mul_f16_sdwa v6, v19, v30 dst_sel:DWORD dst_unused:UNUSED_PAD src0_sel:WORD_1 src1_sel:DWORD
	v_fma_f16 v18, v18, v29, v5
	v_mul_f16_sdwa v5, v20, v31 dst_sel:DWORD dst_unused:UNUSED_PAD src0_sel:WORD_1 src1_sel:DWORD
	v_fma_f16 v29, v19, v30, v4
	v_mul_f16_sdwa v4, v20, v27 dst_sel:DWORD dst_unused:UNUSED_PAD src0_sel:WORD_1 src1_sel:DWORD
	v_fma_f16 v6, v19, v26, -v6
	v_fma_f16 v19, v20, v27, -v5
	v_fma_f16 v20, v20, v31, v4
	ds_read2st64_b32 v[4:5], v15 offset0:18 offset1:21
	v_lshrrev_b32_e32 v27, 16, v28
	s_waitcnt vmcnt(1)
	v_mul_f16_sdwa v30, v21, v27 dst_sel:DWORD dst_unused:UNUSED_PAD src0_sel:WORD_1 src1_sel:DWORD
	v_fma_f16 v30, v21, v28, -v30
	v_mul_f16_sdwa v28, v21, v28 dst_sel:DWORD dst_unused:UNUSED_PAD src0_sel:WORD_1 src1_sel:DWORD
	s_waitcnt lgkmcnt(0)
	v_lshrrev_b32_e32 v26, 16, v4
	v_lshrrev_b32_e32 v33, 16, v5
	v_mul_f16_sdwa v31, v26, v22 dst_sel:DWORD dst_unused:UNUSED_PAD src0_sel:DWORD src1_sel:WORD_1
	v_mul_f16_sdwa v35, v33, v23 dst_sel:DWORD dst_unused:UNUSED_PAD src0_sel:DWORD src1_sel:WORD_1
	v_fma_f16 v31, v4, v22, -v31
	v_fma_f16 v35, v5, v23, -v35
	v_mul_f16_sdwa v4, v4, v22 dst_sel:DWORD dst_unused:UNUSED_PAD src0_sel:DWORD src1_sel:WORD_1
	v_mul_f16_sdwa v5, v5, v23 dst_sel:DWORD dst_unused:UNUSED_PAD src0_sel:DWORD src1_sel:WORD_1
	v_fma_f16 v22, v26, v22, v4
	v_fma_f16 v23, v33, v23, v5
	ds_read2st64_b32 v[4:5], v15 offset0:24 offset1:27
	v_fma_f16 v21, v21, v27, v28
	v_sub_f16_e32 v33, v34, v19
	v_lshrrev_b32_e32 v28, 16, v25
	v_sub_f16_e32 v39, v20, v22
	s_waitcnt lgkmcnt(0)
	v_lshrrev_b32_e32 v26, 16, v4
	v_mul_f16_sdwa v27, v4, v24 dst_sel:DWORD dst_unused:UNUSED_PAD src0_sel:DWORD src1_sel:WORD_1
	v_fma_f16 v27, v26, v24, v27
	v_mul_f16_sdwa v26, v26, v24 dst_sel:DWORD dst_unused:UNUSED_PAD src0_sel:DWORD src1_sel:WORD_1
	v_fma_f16 v4, v4, v24, -v26
	v_lshrrev_b32_e32 v24, 16, v5
	s_waitcnt vmcnt(0)
	v_mul_f16_sdwa v26, v24, v7 dst_sel:DWORD dst_unused:UNUSED_PAD src0_sel:DWORD src1_sel:WORD_1
	v_fma_f16 v26, v5, v7, -v26
	v_mul_f16_sdwa v5, v5, v7 dst_sel:DWORD dst_unused:UNUSED_PAD src0_sel:DWORD src1_sel:WORD_1
	v_fma_f16 v5, v24, v7, v5
	v_add_f16_e32 v7, v19, v31
	v_add_f16_e32 v24, v34, v4
	v_sub_f16_e32 v36, v4, v31
	v_fma_f16 v7, v7, -0.5, v25
	v_fma_f16 v24, v24, -0.5, v25
	v_add_f16_e32 v25, v25, v34
	v_add_f16_e32 v33, v33, v36
	v_sub_f16_e32 v36, v19, v34
	v_sub_f16_e32 v37, v31, v4
	v_add_f16_e32 v36, v36, v37
	v_sub_f16_e32 v37, v18, v27
	v_add_f16_e32 v25, v25, v19
	v_fma_f16 v38, v37, s7, v7
	v_fma_f16 v7, v37, s8, v7
	v_add_f16_e32 v25, v25, v31
	v_fma_f16 v38, v39, s4, v38
	v_fma_f16 v7, v39, s5, v7
	v_add_f16_e32 v25, v25, v4
	v_sub_f16_e32 v4, v34, v4
	v_sub_f16_e32 v19, v19, v31
	;; [unrolled: 1-line block ×4, first 2 shown]
	v_fma_f16 v38, v33, s9, v38
	v_fma_f16 v7, v33, s9, v7
	;; [unrolled: 1-line block ×4, first 2 shown]
	v_add_f16_e32 v31, v31, v34
	v_add_f16_e32 v34, v20, v22
	v_fma_f16 v33, v37, s4, v33
	v_fma_f16 v24, v37, s5, v24
	v_fma_f16 v34, v34, -0.5, v28
	v_fma_f16 v33, v36, s9, v33
	v_fma_f16 v24, v36, s9, v24
	;; [unrolled: 1-line block ×8, first 2 shown]
	v_add_f16_e32 v34, v18, v27
	v_fma_f16 v34, v34, -0.5, v28
	v_add_f16_e32 v28, v28, v18
	v_add_f16_e32 v28, v28, v20
	v_sub_f16_e32 v18, v20, v18
	v_add_f16_e32 v20, v28, v22
	v_add_f16_e32 v28, v20, v27
	v_sub_f16_e32 v20, v22, v27
	v_add_f16_e32 v18, v18, v20
	v_fma_f16 v20, v19, s7, v34
	v_fma_f16 v19, v19, s8, v34
	;; [unrolled: 1-line block ×6, first 2 shown]
	v_sub_f16_e32 v18, v6, v30
	v_sub_f16_e32 v19, v26, v35
	v_add_f16_e32 v18, v18, v19
	v_add_f16_e32 v19, v30, v35
	v_fma_f16 v19, v19, -0.5, v32
	v_sub_f16_e32 v20, v29, v5
	v_fma_f16 v27, v20, s7, v19
	v_sub_f16_e32 v34, v21, v23
	v_fma_f16 v19, v20, s8, v19
	v_fma_f16 v27, v34, s4, v27
	;; [unrolled: 1-line block ×5, first 2 shown]
	v_sub_f16_e32 v19, v30, v6
	v_sub_f16_e32 v37, v35, v26
	v_add_f16_e32 v19, v19, v37
	v_add_f16_e32 v37, v6, v26
	v_fma_f16 v37, v37, -0.5, v32
	v_fma_f16 v39, v34, s8, v37
	v_fma_f16 v34, v34, s7, v37
	;; [unrolled: 1-line block ×6, first 2 shown]
	v_add_f16_e32 v20, v32, v6
	v_add_f16_e32 v20, v20, v30
	;; [unrolled: 1-line block ×4, first 2 shown]
	v_sub_f16_e32 v6, v6, v26
	v_sub_f16_e32 v26, v30, v35
	;; [unrolled: 1-line block ×4, first 2 shown]
	v_add_f16_e32 v30, v30, v32
	v_add_f16_e32 v32, v21, v23
	v_fma_f16 v32, v32, -0.5, v17
	v_fma_f16 v35, v6, s8, v32
	v_fma_f16 v32, v6, s7, v32
	;; [unrolled: 1-line block ×6, first 2 shown]
	v_add_f16_e32 v32, v29, v5
	v_fma_f16 v32, v32, -0.5, v17
	v_add_f16_e32 v17, v17, v29
	v_add_f16_e32 v17, v17, v21
	;; [unrolled: 1-line block ×3, first 2 shown]
	v_sub_f16_e32 v21, v21, v29
	v_add_f16_e32 v29, v17, v5
	v_sub_f16_e32 v5, v23, v5
	v_add_f16_e32 v5, v21, v5
	v_fma_f16 v17, v26, s7, v32
	v_fma_f16 v21, v26, s8, v32
	v_fma_f16 v17, v6, s5, v17
	v_fma_f16 v6, v6, s4, v21
	v_mul_f16_e32 v21, 0x38b4, v35
	v_fma_f16 v17, v5, s9, v17
	v_fma_f16 v21, v27, s10, v21
	v_mul_f16_e32 v23, 0xb8b4, v27
	v_mul_f16_e32 v27, 0xbb9c, v34
	v_fma_f16 v5, v5, s9, v6
	v_mul_f16_e32 v26, 0x3b9c, v17
	v_fma_f16 v27, v17, s9, v27
	v_mul_f16_e32 v17, 0x34f2, v19
	v_fma_f16 v17, v5, s7, -v17
	v_mul_f16_e32 v5, 0x34f2, v5
	v_fma_f16 v5, v19, s8, -v5
	v_mul_f16_e32 v19, 0x3a79, v18
	v_fma_f16 v26, v34, s9, v26
	v_fma_f16 v19, v30, s4, -v19
	v_mul_f16_e32 v30, 0x3a79, v30
	v_add_f16_e32 v6, v25, v20
	v_fma_f16 v30, v18, s5, -v30
	v_sub_f16_e32 v25, v25, v20
	v_add_f16_e32 v34, v33, v26
	v_add_f16_e32 v37, v24, v17
	v_sub_f16_e32 v26, v33, v26
	v_add_f16_e32 v33, v7, v19
	v_sub_f16_e32 v17, v24, v17
	;; [unrolled: 2-line block ×3, first 2 shown]
	v_sub_f16_e32 v19, v28, v29
	v_add_f16_e32 v29, v4, v5
	v_sub_f16_e32 v18, v4, v5
	v_lshrrev_b32_e32 v4, 2, v8
	v_mul_u32_u24_e32 v4, 40, v4
	v_fma_f16 v23, v35, s10, v23
	v_or_b32_e32 v2, v4, v2
	v_add_f16_e32 v32, v38, v21
	v_add_f16_e32 v7, v36, v23
	v_mul_u32_u24_e32 v2, 48, v2
	v_add_f16_e32 v28, v22, v27
	v_add3_u32 v2, 0, v2, v3
	v_pack_b32_f16 v3, v6, v24
	v_pack_b32_f16 v4, v32, v7
	v_sub_f16_e32 v22, v22, v27
	v_add_f16_e32 v27, v31, v30
	s_barrier
	ds_write2_b32 v2, v3, v4 offset1:48
	v_pack_b32_f16 v3, v34, v28
	v_pack_b32_f16 v4, v37, v29
	v_sub_f16_e32 v35, v38, v21
	v_sub_f16_e32 v23, v36, v23
	ds_write2_b32 v2, v3, v4 offset0:96 offset1:144
	v_pack_b32_f16 v3, v33, v27
	v_pack_b32_f16 v4, v25, v19
	v_sub_f16_e32 v21, v31, v30
	ds_write2_b32 v2, v3, v4 offset0:192 offset1:240
	v_pack_b32_f16 v3, v35, v23
	v_pack_b32_f16 v4, v26, v22
	v_add_u32_e32 v2, 0x400, v2
	ds_write2_b32 v2, v3, v4 offset0:32 offset1:80
	v_pack_b32_f16 v3, v17, v18
	v_pack_b32_f16 v4, v20, v21
	ds_write2_b32 v2, v3, v4 offset0:128 offset1:176
	v_add_u32_e32 v4, 0x80, v15
	s_waitcnt lgkmcnt(0)
	s_barrier
	ds_read_b32 v22, v15
	ds_read2st64_b32 v[6:7], v4 offset0:7 offset1:10
	ds_read2st64_b32 v[2:3], v15 offset0:15 offset1:18
	;; [unrolled: 1-line block ×3, first 2 shown]
	ds_read_b32 v19, v16
	s_and_saveexec_b64 s[4:5], s[2:3]
	s_cbranch_execz .LBB0_20
; %bb.19:
	v_add_u32_e32 v12, 0x300, v16
	ds_read_b32 v17, v12
	ds_read_b32 v12, v15 offset:7296
	ds_read_b32 v20, v15 offset:3456
	;; [unrolled: 1-line block ×3, first 2 shown]
	s_waitcnt lgkmcnt(3)
	v_lshrrev_b32_e32 v18, 16, v17
	s_waitcnt lgkmcnt(2)
	v_lshrrev_b32_e32 v13, 16, v12
	;; [unrolled: 2-line block ×3, first 2 shown]
.LBB0_20:
	s_or_b64 exec, exec, s[4:5]
	s_mov_b32 s4, 0x6666667
	v_mul_hi_u32 v16, v0, s4
	v_mul_u32_u24_e32 v15, 3, v8
	v_lshlrev_b32_e32 v15, 2, v15
	global_load_dwordx3 v[23:25], v15, s[30:31] offset:144
	v_mul_u32_u24_e32 v15, 40, v16
	v_sub_u32_e32 v32, v0, v15
	v_mul_hi_u32 v15, v11, s4
	v_mov_b32_e32 v30, 0
	v_mul_i32_i24_e32 v29, 3, v32
	v_lshlrev_b64 v[26:27], 2, v[29:30]
	v_mov_b32_e32 v31, s31
	v_add_co_u32_e64 v26, s[2:3], s30, v26
	v_mul_u32_u24_e32 v29, 40, v15
	v_addc_co_u32_e64 v27, s[2:3], v31, v27, s[2:3]
	v_sub_u32_e32 v33, v11, v29
	global_load_dwordx3 v[26:28], v[26:27], off offset:144
	v_mul_i32_i24_e32 v29, 3, v33
	v_lshlrev_b64 v[29:30], 2, v[29:30]
	s_waitcnt lgkmcnt(2)
	v_lshrrev_b32_e32 v37, 16, v2
	v_add_co_u32_e64 v29, s[2:3], s30, v29
	v_addc_co_u32_e64 v30, s[2:3], v31, v30, s[2:3]
	global_load_dwordx3 v[29:31], v[29:30], off offset:144
	s_waitcnt lgkmcnt(1)
	v_lshrrev_b32_e32 v38, 16, v4
	s_mov_b32 s4, 0x7060302
	s_mov_b32 s3, 0x5040100
	v_lshrrev_b32_e32 v35, 16, v3
	v_lshrrev_b32_e32 v36, 16, v5
	;; [unrolled: 1-line block ×3, first 2 shown]
	s_add_i32 s2, 0, 0x1e00
	v_mul_lo_u32 v32, v32, v1
	v_mul_lo_u32 v9, s18, v9
	s_mov_b32 s7, 0x20000
	s_mov_b32 s5, s23
	v_mul_lo_u32 v10, s16, v10
	v_add_lshl_u32 v10, v9, v10, 2
	v_cndmask_b32_e32 v10, -1, v10, vcc
	s_waitcnt vmcnt(2)
	v_pk_mul_f16 v39, v23, v6
	v_mul_f16_sdwa v42, v24, v2 dst_sel:DWORD dst_unused:UNUSED_PAD src0_sel:WORD_1 src1_sel:DWORD
	v_mul_f16_sdwa v40, v23, v6 dst_sel:DWORD dst_unused:UNUSED_PAD src0_sel:DWORD src1_sel:WORD_1
	v_lshrrev_b32_e32 v41, 16, v23
	v_fma_f16 v37, v24, v37, v42
	v_mul_f16_sdwa v42, v25, v4 dst_sel:DWORD dst_unused:UNUSED_PAD src0_sel:WORD_1 src1_sel:DWORD
	v_alignbit_b32 v39, s0, v39, 16
	v_fma_f16 v38, v25, v38, v42
	v_perm_b32 v42, v25, v24, s3
	v_pk_fma_f16 v23, v23, v6, v39 neg_lo:[0,0,1] neg_hi:[0,0,1]
	v_perm_b32 v24, v25, v24, s4
	v_fma_f16 v6, v41, v6, v40
	v_perm_b32 v40, v4, v2, s4
	v_pk_mul_f16 v24, v24, v40
	v_perm_b32 v2, v4, v2, s3
	v_pk_fma_f16 v2, v42, v2, v24 neg_lo:[0,0,1] neg_hi:[0,0,1]
	s_waitcnt vmcnt(1)
	v_mul_f16_sdwa v4, v26, v7 dst_sel:DWORD dst_unused:UNUSED_PAD src0_sel:DWORD src1_sel:WORD_1
	v_lshrrev_b32_e32 v24, 16, v26
	v_fma_f16 v4, v24, v7, v4
	v_pk_mul_f16 v24, v26, v7
	v_alignbit_b32 v24, s0, v24, 16
	v_pk_fma_f16 v7, v26, v7, v24 neg_lo:[0,0,1] neg_hi:[0,0,1]
	v_perm_b32 v24, v5, v3, s4
	v_perm_b32 v26, v5, v3, s3
	v_mul_f16_sdwa v3, v27, v3 dst_sel:DWORD dst_unused:UNUSED_PAD src0_sel:WORD_1 src1_sel:DWORD
	v_mul_f16_sdwa v5, v28, v5 dst_sel:DWORD dst_unused:UNUSED_PAD src0_sel:WORD_1 src1_sel:DWORD
	v_perm_b32 v41, v28, v27, s3
	v_fma_f16 v3, v27, v35, v3
	v_perm_b32 v27, v28, v27, s4
	v_fma_f16 v5, v28, v36, v5
	s_waitcnt vmcnt(0)
	v_mul_f16_sdwa v28, v21, v29 dst_sel:DWORD dst_unused:UNUSED_PAD src0_sel:DWORD src1_sel:WORD_1
	v_pk_mul_f16 v24, v27, v24
	v_mul_f16_sdwa v27, v13, v31 dst_sel:DWORD dst_unused:UNUSED_PAD src0_sel:DWORD src1_sel:WORD_1
	v_mul_lo_u32 v39, v8, v1
	v_mul_f16_sdwa v35, v20, v29 dst_sel:DWORD dst_unused:UNUSED_PAD src0_sel:DWORD src1_sel:WORD_1
	v_fma_f16 v20, v20, v29, -v28
	v_mul_f16_sdwa v28, v12, v31 dst_sel:DWORD dst_unused:UNUSED_PAD src0_sel:DWORD src1_sel:WORD_1
	v_fma_f16 v12, v12, v31, -v27
	v_mul_lo_u32 v27, v1, 40
	s_waitcnt lgkmcnt(0)
	v_lshrrev_b32_e32 v25, 16, v14
	v_mul_f16_sdwa v36, v25, v30 dst_sel:DWORD dst_unused:UNUSED_PAD src0_sel:DWORD src1_sel:WORD_1
	v_mul_f16_sdwa v42, v14, v30 dst_sel:DWORD dst_unused:UNUSED_PAD src0_sel:DWORD src1_sel:WORD_1
	v_fma_f16 v21, v21, v29, v35
	v_add_u32_e32 v29, v39, v27
	v_fma_f16 v14, v14, v30, -v36
	v_fma_f16 v25, v25, v30, v42
	v_fma_f16 v13, v13, v31, v28
	v_and_b32_e32 v30, 63, v29
	v_lshrrev_b32_e32 v31, 4, v29
	v_lshrrev_b32_e32 v35, 10, v29
	v_add_u32_e32 v29, v29, v27
	v_perm_b32 v22, v23, v22, s3
	v_and_b32_e32 v23, 63, v39
	v_pk_fma_f16 v24, v41, v26, v24 neg_lo:[0,0,1] neg_hi:[0,0,1]
	v_lshrrev_b32_e32 v26, 4, v39
	v_lshrrev_b32_e32 v28, 10, v39
	v_lshrrev_b32_e32 v39, 4, v29
	v_and_b32_e32 v26, 0xfc, v26
	v_and_b32_e32 v28, 0xfc, v28
	;; [unrolled: 1-line block ×6, first 2 shown]
	v_lshl_add_u32 v23, v23, 2, 0
	v_add_u32_e32 v26, s2, v26
	v_add_u32_e32 v28, s2, v28
	v_lshl_add_u32 v30, v30, 2, 0
	v_add_u32_e32 v31, s2, v31
	v_add_u32_e32 v35, s2, v35
	v_lshl_add_u32 v36, v36, 2, 0
	v_add_u32_e32 v39, s2, v39
	ds_read_b32 v23, v23 offset:7680
	ds_read_b32 v26, v26 offset:256
	;; [unrolled: 1-line block ×8, first 2 shown]
	s_waitcnt lgkmcnt(7)
	v_lshrrev_b32_e32 v41, 16, v23
	s_waitcnt lgkmcnt(6)
	v_mul_f16_sdwa v42, v41, v26 dst_sel:DWORD dst_unused:UNUSED_PAD src0_sel:DWORD src1_sel:WORD_1
	v_fma_f16 v42, v23, v26, -v42
	v_mul_f16_sdwa v23, v23, v26 dst_sel:DWORD dst_unused:UNUSED_PAD src0_sel:DWORD src1_sel:WORD_1
	v_sub_f16_e32 v37, v34, v37
	v_sub_f16_e32 v38, v6, v38
	v_fma_f16 v23, v41, v26, v23
	v_fma_f16 v34, v34, 2.0, -v37
	v_fma_f16 v6, v6, 2.0, -v38
	v_pk_add_f16 v2, v22, v2 neg_lo:[0,1] neg_hi:[0,1]
	s_waitcnt lgkmcnt(5)
	v_mul_f16_sdwa v41, v23, v28 dst_sel:DWORD dst_unused:UNUSED_PAD src0_sel:DWORD src1_sel:WORD_1
	v_sub_f16_e32 v6, v34, v6
	v_pk_fma_f16 v22, v22, 2.0, v2 op_sel_hi:[1,0,1] neg_lo:[0,0,1] neg_hi:[0,0,1]
	v_fma_f16 v41, v28, v42, -v41
	v_mul_f16_sdwa v42, v42, v28 dst_sel:DWORD dst_unused:UNUSED_PAD src0_sel:DWORD src1_sel:WORD_1
	v_fma_f16 v34, v34, 2.0, -v6
	v_sub_f16_sdwa v40, v22, v22 dst_sel:DWORD dst_unused:UNUSED_PAD src0_sel:DWORD src1_sel:WORD_1
	v_fma_f16 v23, v28, v23, v42
	v_fma_f16 v22, v22, 2.0, -v40
	v_mul_f16_e32 v28, v34, v23
	v_fma_f16 v28, v22, v41, -v28
	v_mul_f16_e32 v22, v22, v23
	s_waitcnt lgkmcnt(4)
	v_lshrrev_b32_e32 v23, 16, v30
	v_fma_f16 v22, v34, v41, v22
	s_waitcnt lgkmcnt(3)
	v_mul_f16_sdwa v34, v23, v31 dst_sel:DWORD dst_unused:UNUSED_PAD src0_sel:DWORD src1_sel:WORD_1
	v_fma_f16 v34, v30, v31, -v34
	v_mul_f16_sdwa v30, v30, v31 dst_sel:DWORD dst_unused:UNUSED_PAD src0_sel:DWORD src1_sel:WORD_1
	v_add_f16_sdwa v26, v37, v2 dst_sel:DWORD dst_unused:UNUSED_PAD src0_sel:DWORD src1_sel:WORD_1
	v_fma_f16 v23, v23, v31, v30
	s_waitcnt lgkmcnt(2)
	v_mul_f16_sdwa v31, v34, v35 dst_sel:DWORD dst_unused:UNUSED_PAD src0_sel:DWORD src1_sel:WORD_1
	v_sub_f16_e32 v38, v2, v38
	v_fma_f16 v37, v37, 2.0, -v26
	v_mul_f16_sdwa v30, v23, v35 dst_sel:DWORD dst_unused:UNUSED_PAD src0_sel:DWORD src1_sel:WORD_1
	v_fma_f16 v23, v35, v23, v31
	v_fma_f16 v2, v2, 2.0, -v38
	v_fma_f16 v30, v35, v34, -v30
	v_mul_f16_e32 v31, v37, v23
	v_fma_f16 v31, v2, v30, -v31
	v_mul_f16_e32 v2, v2, v23
	s_waitcnt lgkmcnt(1)
	v_lshrrev_b32_e32 v23, 16, v36
	s_waitcnt lgkmcnt(0)
	v_mul_f16_sdwa v34, v36, v39 dst_sel:DWORD dst_unused:UNUSED_PAD src0_sel:DWORD src1_sel:WORD_1
	v_fma_f16 v2, v37, v30, v2
	v_mul_f16_sdwa v30, v23, v39 dst_sel:DWORD dst_unused:UNUSED_PAD src0_sel:DWORD src1_sel:WORD_1
	v_fma_f16 v23, v23, v39, v34
	v_lshrrev_b32_e32 v34, 10, v29
	v_add_u32_e32 v29, v29, v27
	v_fma_f16 v30, v36, v39, -v30
	v_and_b32_e32 v35, 63, v29
	v_lshrrev_b32_e32 v36, 4, v29
	v_lshrrev_b32_e32 v29, 10, v29
	v_and_b32_e32 v37, 63, v32
	v_lshrrev_b32_e32 v39, 4, v32
	v_lshrrev_b32_e32 v41, 10, v32
	v_add_u32_e32 v32, v32, v27
	v_and_b32_e32 v34, 0xfc, v34
	v_and_b32_e32 v36, 0xfc, v36
	;; [unrolled: 1-line block ×6, first 2 shown]
	v_add_u32_e32 v34, s2, v34
	v_lshl_add_u32 v35, v35, 2, 0
	v_add_u32_e32 v36, s2, v36
	v_add_u32_e32 v29, s2, v29
	v_lshl_add_u32 v37, v37, 2, 0
	v_add_u32_e32 v39, s2, v39
	v_add_u32_e32 v41, s2, v41
	v_lshl_add_u32 v42, v42, 2, 0
	ds_read_b32 v34, v34 offset:512
	ds_read_b32 v35, v35 offset:7680
	ds_read_b32 v36, v36 offset:256
	ds_read_b32 v29, v29 offset:512
	ds_read_b32 v37, v37 offset:7680
	ds_read_b32 v39, v39 offset:256
	ds_read_b32 v41, v41 offset:512
	ds_read_b32 v42, v42 offset:7680
	s_waitcnt lgkmcnt(7)
	v_mul_f16_sdwa v43, v23, v34 dst_sel:DWORD dst_unused:UNUSED_PAD src0_sel:DWORD src1_sel:WORD_1
	v_fma_f16 v43, v34, v30, -v43
	v_mul_f16_sdwa v30, v30, v34 dst_sel:DWORD dst_unused:UNUSED_PAD src0_sel:DWORD src1_sel:WORD_1
	v_fma_f16 v23, v34, v23, v30
	v_perm_b32 v7, v7, v19, s3
	v_lshrrev_b32_e32 v30, 16, v19
	v_pk_add_f16 v19, v7, v24 neg_lo:[0,1] neg_hi:[0,1]
	v_mul_f16_e32 v24, v6, v23
	v_mul_f16_e32 v23, v40, v23
	v_fma_f16 v6, v6, v43, v23
	s_waitcnt lgkmcnt(6)
	v_lshrrev_b32_e32 v23, 16, v35
	v_fma_f16 v24, v40, v43, -v24
	s_waitcnt lgkmcnt(5)
	v_mul_f16_sdwa v40, v23, v36 dst_sel:DWORD dst_unused:UNUSED_PAD src0_sel:DWORD src1_sel:WORD_1
	v_fma_f16 v40, v35, v36, -v40
	v_mul_f16_sdwa v35, v35, v36 dst_sel:DWORD dst_unused:UNUSED_PAD src0_sel:DWORD src1_sel:WORD_1
	v_fma_f16 v23, v23, v36, v35
	s_waitcnt lgkmcnt(4)
	v_mul_f16_sdwa v36, v40, v29 dst_sel:DWORD dst_unused:UNUSED_PAD src0_sel:DWORD src1_sel:WORD_1
	v_mul_f16_sdwa v35, v23, v29 dst_sel:DWORD dst_unused:UNUSED_PAD src0_sel:DWORD src1_sel:WORD_1
	v_fma_f16 v23, v29, v23, v36
	v_fma_f16 v35, v29, v40, -v35
	v_mul_f16_e32 v29, v26, v23
	v_mul_f16_e32 v23, v38, v23
	v_fma_f16 v23, v26, v35, v23
	s_waitcnt lgkmcnt(3)
	v_lshrrev_b32_e32 v26, 16, v37
	s_waitcnt lgkmcnt(2)
	v_mul_f16_sdwa v36, v37, v39 dst_sel:DWORD dst_unused:UNUSED_PAD src0_sel:DWORD src1_sel:WORD_1
	v_sub_f16_e32 v3, v30, v3
	v_sub_f16_e32 v5, v4, v5
	v_fma_f16 v29, v38, v35, -v29
	v_mul_f16_sdwa v35, v26, v39 dst_sel:DWORD dst_unused:UNUSED_PAD src0_sel:DWORD src1_sel:WORD_1
	v_fma_f16 v26, v26, v39, v36
	v_fma_f16 v30, v30, 2.0, -v3
	v_fma_f16 v4, v4, 2.0, -v5
	v_fma_f16 v35, v37, v39, -v35
	s_waitcnt lgkmcnt(1)
	v_mul_f16_sdwa v36, v26, v41 dst_sel:DWORD dst_unused:UNUSED_PAD src0_sel:DWORD src1_sel:WORD_1
	v_pk_fma_f16 v7, v7, 2.0, v19 op_sel_hi:[1,0,1] neg_lo:[0,0,1] neg_hi:[0,0,1]
	v_sub_f16_e32 v4, v30, v4
	v_fma_f16 v36, v41, v35, -v36
	v_mul_f16_sdwa v35, v35, v41 dst_sel:DWORD dst_unused:UNUSED_PAD src0_sel:DWORD src1_sel:WORD_1
	v_sub_f16_sdwa v34, v7, v7 dst_sel:DWORD dst_unused:UNUSED_PAD src0_sel:DWORD src1_sel:WORD_1
	v_fma_f16 v30, v30, 2.0, -v4
	v_fma_f16 v26, v41, v26, v35
	v_fma_f16 v7, v7, 2.0, -v34
	v_mul_f16_e32 v35, v30, v26
	v_fma_f16 v35, v7, v36, -v35
	v_mul_f16_e32 v7, v7, v26
	v_fma_f16 v7, v30, v36, v7
	v_lshrrev_b32_e32 v30, 4, v32
	v_lshrrev_b32_e32 v36, 10, v32
	v_add_u32_e32 v32, v32, v27
	v_and_b32_e32 v37, 63, v32
	v_lshrrev_b32_e32 v38, 4, v32
	v_lshrrev_b32_e32 v39, 10, v32
	v_add_u32_e32 v32, v32, v27
	v_and_b32_e32 v40, 63, v32
	v_lshrrev_b32_e32 v41, 4, v32
	v_lshrrev_b32_e32 v32, 10, v32
	v_and_b32_e32 v30, 0xfc, v30
	v_and_b32_e32 v36, 0xfc, v36
	;; [unrolled: 1-line block ×6, first 2 shown]
	s_waitcnt lgkmcnt(0)
	v_lshrrev_b32_e32 v26, 16, v42
	v_add_u32_e32 v30, s2, v30
	v_add_u32_e32 v36, s2, v36
	v_lshl_add_u32 v37, v37, 2, 0
	v_add_u32_e32 v38, s2, v38
	v_add_u32_e32 v39, s2, v39
	v_lshl_add_u32 v40, v40, 2, 0
	v_add_u32_e32 v41, s2, v41
	v_add_u32_e32 v32, s2, v32
	ds_read_b32 v30, v30 offset:256
	ds_read_b32 v36, v36 offset:512
	;; [unrolled: 1-line block ×8, first 2 shown]
	s_waitcnt lgkmcnt(7)
	v_mul_f16_sdwa v43, v26, v30 dst_sel:DWORD dst_unused:UNUSED_PAD src0_sel:DWORD src1_sel:WORD_1
	v_fma_f16 v43, v42, v30, -v43
	v_mul_f16_sdwa v42, v42, v30 dst_sel:DWORD dst_unused:UNUSED_PAD src0_sel:DWORD src1_sel:WORD_1
	v_fma_f16 v26, v26, v30, v42
	s_waitcnt lgkmcnt(6)
	v_mul_f16_sdwa v30, v26, v36 dst_sel:DWORD dst_unused:UNUSED_PAD src0_sel:DWORD src1_sel:WORD_1
	v_mul_f16_sdwa v42, v43, v36 dst_sel:DWORD dst_unused:UNUSED_PAD src0_sel:DWORD src1_sel:WORD_1
	v_fma_f16 v30, v36, v43, -v30
	v_fma_f16 v26, v36, v26, v42
	v_add_f16_sdwa v36, v3, v19 dst_sel:DWORD dst_unused:UNUSED_PAD src0_sel:DWORD src1_sel:WORD_1
	v_sub_f16_e32 v5, v19, v5
	v_fma_f16 v3, v3, 2.0, -v36
	v_fma_f16 v19, v19, 2.0, -v5
	v_mul_f16_e32 v42, v3, v26
	v_fma_f16 v42, v19, v30, -v42
	v_mul_f16_e32 v19, v19, v26
	v_fma_f16 v3, v3, v30, v19
	s_waitcnt lgkmcnt(5)
	v_lshrrev_b32_e32 v19, 16, v37
	s_waitcnt lgkmcnt(4)
	v_mul_f16_sdwa v30, v37, v38 dst_sel:DWORD dst_unused:UNUSED_PAD src0_sel:DWORD src1_sel:WORD_1
	v_mul_f16_sdwa v26, v19, v38 dst_sel:DWORD dst_unused:UNUSED_PAD src0_sel:DWORD src1_sel:WORD_1
	v_fma_f16 v19, v19, v38, v30
	v_fma_f16 v26, v37, v38, -v26
	s_waitcnt lgkmcnt(3)
	v_mul_f16_sdwa v30, v19, v39 dst_sel:DWORD dst_unused:UNUSED_PAD src0_sel:DWORD src1_sel:WORD_1
	v_fma_f16 v30, v39, v26, -v30
	v_mul_f16_sdwa v26, v26, v39 dst_sel:DWORD dst_unused:UNUSED_PAD src0_sel:DWORD src1_sel:WORD_1
	v_fma_f16 v19, v39, v19, v26
	v_mul_f16_e32 v26, v4, v19
	v_mul_f16_e32 v19, v34, v19
	v_fma_f16 v26, v34, v30, -v26
	v_fma_f16 v4, v4, v30, v19
	s_waitcnt lgkmcnt(2)
	v_lshrrev_b32_e32 v19, 16, v40
	s_waitcnt lgkmcnt(1)
	v_mul_f16_sdwa v34, v40, v41 dst_sel:DWORD dst_unused:UNUSED_PAD src0_sel:DWORD src1_sel:WORD_1
	v_mul_f16_sdwa v30, v19, v41 dst_sel:DWORD dst_unused:UNUSED_PAD src0_sel:DWORD src1_sel:WORD_1
	v_fma_f16 v19, v19, v41, v34
	v_fma_f16 v30, v40, v41, -v30
	s_waitcnt lgkmcnt(0)
	v_mul_f16_sdwa v34, v19, v32 dst_sel:DWORD dst_unused:UNUSED_PAD src0_sel:DWORD src1_sel:WORD_1
	v_mul_lo_u32 v1, v33, v1
	v_fma_f16 v34, v32, v30, -v34
	v_mul_f16_sdwa v30, v30, v32 dst_sel:DWORD dst_unused:UNUSED_PAD src0_sel:DWORD src1_sel:WORD_1
	v_fma_f16 v19, v32, v19, v30
	v_mul_f16_e32 v30, v36, v19
	v_fma_f16 v30, v5, v34, -v30
	v_mul_f16_e32 v5, v5, v19
	v_and_b32_e32 v19, 63, v1
	v_lshrrev_b32_e32 v32, 4, v1
	v_lshrrev_b32_e32 v33, 10, v1
	v_add_u32_e32 v1, v1, v27
	v_fma_f16 v5, v36, v34, v5
	v_and_b32_e32 v34, 63, v1
	v_lshrrev_b32_e32 v36, 4, v1
	v_lshrrev_b32_e32 v37, 10, v1
	v_add_u32_e32 v1, v1, v27
	v_lshrrev_b32_e32 v39, 4, v1
	v_and_b32_e32 v32, 0xfc, v32
	v_and_b32_e32 v33, 0xfc, v33
	;; [unrolled: 1-line block ×6, first 2 shown]
	v_lshl_add_u32 v19, v19, 2, 0
	v_add_u32_e32 v32, s2, v32
	v_add_u32_e32 v33, s2, v33
	v_lshl_add_u32 v34, v34, 2, 0
	v_add_u32_e32 v36, s2, v36
	v_add_u32_e32 v37, s2, v37
	v_lshl_add_u32 v38, v38, 2, 0
	v_add_u32_e32 v39, s2, v39
	ds_read_b32 v19, v19 offset:7680
	ds_read_b32 v32, v32 offset:256
	ds_read_b32 v33, v33 offset:512
	ds_read_b32 v34, v34 offset:7680
	ds_read_b32 v36, v36 offset:256
	ds_read_b32 v37, v37 offset:512
	ds_read_b32 v38, v38 offset:7680
	ds_read_b32 v39, v39 offset:256
	s_waitcnt lgkmcnt(7)
	v_lshrrev_b32_e32 v40, 16, v19
	v_sub_f16_e32 v25, v18, v25
	v_sub_f16_e32 v13, v21, v13
	s_waitcnt lgkmcnt(6)
	v_mul_f16_sdwa v41, v40, v32 dst_sel:DWORD dst_unused:UNUSED_PAD src0_sel:DWORD src1_sel:WORD_1
	v_sub_f16_e32 v14, v17, v14
	v_fma_f16 v18, v18, 2.0, -v25
	v_sub_f16_e32 v12, v20, v12
	v_fma_f16 v21, v21, 2.0, -v13
	v_fma_f16 v41, v19, v32, -v41
	v_mul_f16_sdwa v19, v19, v32 dst_sel:DWORD dst_unused:UNUSED_PAD src0_sel:DWORD src1_sel:WORD_1
	v_fma_f16 v17, v17, 2.0, -v14
	v_fma_f16 v20, v20, 2.0, -v12
	v_sub_f16_e32 v21, v18, v21
	v_fma_f16 v19, v40, v32, v19
	s_waitcnt lgkmcnt(5)
	v_mul_f16_sdwa v40, v41, v33 dst_sel:DWORD dst_unused:UNUSED_PAD src0_sel:DWORD src1_sel:WORD_1
	v_sub_f16_e32 v20, v17, v20
	v_fma_f16 v18, v18, 2.0, -v21
	v_mul_f16_sdwa v32, v19, v33 dst_sel:DWORD dst_unused:UNUSED_PAD src0_sel:DWORD src1_sel:WORD_1
	v_fma_f16 v19, v33, v19, v40
	v_fma_f16 v17, v17, 2.0, -v20
	v_fma_f16 v32, v33, v41, -v32
	v_mul_f16_e32 v33, v18, v19
	v_fma_f16 v33, v17, v32, -v33
	v_mul_f16_e32 v17, v17, v19
	v_fma_f16 v17, v18, v32, v17
	s_waitcnt lgkmcnt(4)
	v_lshrrev_b32_e32 v18, 16, v34
	s_waitcnt lgkmcnt(3)
	v_mul_f16_sdwa v32, v34, v36 dst_sel:DWORD dst_unused:UNUSED_PAD src0_sel:DWORD src1_sel:WORD_1
	v_mul_f16_sdwa v19, v18, v36 dst_sel:DWORD dst_unused:UNUSED_PAD src0_sel:DWORD src1_sel:WORD_1
	v_fma_f16 v18, v18, v36, v32
	v_fma_f16 v19, v34, v36, -v19
	s_waitcnt lgkmcnt(2)
	v_mul_f16_sdwa v32, v18, v37 dst_sel:DWORD dst_unused:UNUSED_PAD src0_sel:DWORD src1_sel:WORD_1
	v_add_f16_e32 v12, v25, v12
	v_fma_f16 v32, v37, v19, -v32
	v_mul_f16_sdwa v19, v19, v37 dst_sel:DWORD dst_unused:UNUSED_PAD src0_sel:DWORD src1_sel:WORD_1
	v_sub_f16_e32 v13, v14, v13
	v_fma_f16 v25, v25, 2.0, -v12
	v_fma_f16 v18, v37, v18, v19
	v_fma_f16 v14, v14, 2.0, -v13
	v_mul_f16_e32 v19, v25, v18
	v_fma_f16 v19, v14, v32, -v19
	v_mul_f16_e32 v14, v14, v18
	v_fma_f16 v14, v25, v32, v14
	s_waitcnt lgkmcnt(1)
	v_lshrrev_b32_e32 v18, 16, v38
	s_waitcnt lgkmcnt(0)
	v_mul_f16_sdwa v32, v38, v39 dst_sel:DWORD dst_unused:UNUSED_PAD src0_sel:DWORD src1_sel:WORD_1
	v_mul_f16_sdwa v25, v18, v39 dst_sel:DWORD dst_unused:UNUSED_PAD src0_sel:DWORD src1_sel:WORD_1
	v_fma_f16 v18, v18, v39, v32
	v_lshrrev_b32_e32 v32, 10, v1
	v_and_b32_e32 v32, 0xfc, v32
	v_add_u32_e32 v32, s2, v32
	ds_read_b32 v32, v32 offset:512
	v_add_u32_e32 v1, v1, v27
	v_and_b32_e32 v27, 63, v1
	v_lshrrev_b32_e32 v34, 4, v1
	v_lshrrev_b32_e32 v1, 10, v1
	v_and_b32_e32 v34, 0xfc, v34
	v_and_b32_e32 v1, 0xfc, v1
	v_fma_f16 v25, v38, v39, -v25
	v_lshl_add_u32 v27, v27, 2, 0
	v_add_u32_e32 v34, s2, v34
	v_add_u32_e32 v1, s2, v1
	s_waitcnt lgkmcnt(0)
	v_mul_f16_sdwa v36, v18, v32 dst_sel:DWORD dst_unused:UNUSED_PAD src0_sel:DWORD src1_sel:WORD_1
	ds_read_b32 v27, v27 offset:7680
	ds_read_b32 v34, v34 offset:256
	;; [unrolled: 1-line block ×3, first 2 shown]
	v_fma_f16 v36, v32, v25, -v36
	v_mul_f16_sdwa v25, v25, v32 dst_sel:DWORD dst_unused:UNUSED_PAD src0_sel:DWORD src1_sel:WORD_1
	v_fma_f16 v18, v32, v18, v25
	v_mul_f16_e32 v25, v21, v18
	v_fma_f16 v25, v20, v36, -v25
	v_mul_f16_e32 v18, v20, v18
	s_waitcnt lgkmcnt(2)
	v_lshrrev_b32_e32 v20, 16, v27
	v_fma_f16 v18, v21, v36, v18
	s_waitcnt lgkmcnt(1)
	v_mul_f16_sdwa v21, v20, v34 dst_sel:DWORD dst_unused:UNUSED_PAD src0_sel:DWORD src1_sel:WORD_1
	v_fma_f16 v21, v27, v34, -v21
	v_mul_f16_sdwa v27, v27, v34 dst_sel:DWORD dst_unused:UNUSED_PAD src0_sel:DWORD src1_sel:WORD_1
	v_fma_f16 v20, v20, v34, v27
	s_waitcnt lgkmcnt(0)
	v_mul_f16_sdwa v27, v20, v1 dst_sel:DWORD dst_unused:UNUSED_PAD src0_sel:DWORD src1_sel:WORD_1
	v_fma_f16 v27, v1, v21, -v27
	v_mul_f16_sdwa v21, v21, v1 dst_sel:DWORD dst_unused:UNUSED_PAD src0_sel:DWORD src1_sel:WORD_1
	v_fma_f16 v1, v1, v20, v21
	v_mul_f16_e32 v20, v12, v1
	v_fma_f16 v20, v13, v27, -v20
	v_mul_f16_e32 v1, v13, v1
	v_mul_lo_u32 v13, s16, v8
	s_mul_i32 s3, s6, s28
	s_add_i32 s3, s3, s17
	v_fma_f16 v1, v12, v27, v1
	v_lshlrev_b32_e32 v12, 16, v22
	v_add_lshl_u32 v13, v9, v13, 2
	v_or_b32_sdwa v12, v12, v28 dst_sel:DWORD dst_unused:UNUSED_PAD src0_sel:DWORD src1_sel:WORD_0
	s_lshl_b32 s2, s3, 2
	v_cndmask_b32_e32 v13, -1, v13, vcc
	s_mov_b32 s6, -2
	s_mov_b32 s4, s22
	buffer_store_dword v12, v13, s[4:7], s2 offen
	v_add_u32_e32 v12, 0x50, v8
	v_mul_lo_u32 v12, s16, v12
	v_lshlrev_b32_e32 v2, 16, v2
	v_or_b32_sdwa v2, v2, v31 dst_sel:DWORD dst_unused:UNUSED_PAD src0_sel:DWORD src1_sel:WORD_0
	buffer_store_dword v2, v10, s[4:7], s2 offen
	v_lshlrev_b32_e32 v2, 16, v6
	v_add_lshl_u32 v6, v9, v12, 2
	v_or_b32_sdwa v2, v2, v24 dst_sel:DWORD dst_unused:UNUSED_PAD src0_sel:DWORD src1_sel:WORD_0
	v_cndmask_b32_e32 v6, -1, v6, vcc
	buffer_store_dword v2, v6, s[4:7], s2 offen
	v_add_u32_e32 v2, 0x78, v8
	v_mul_lo_u32 v2, s16, v2
	s_movk_i32 s3, 0x78
	v_mad_u32_u24 v0, v16, s3, v0
	v_mul_lo_u32 v8, s16, v0
	v_lshlrev_b32_e32 v6, 16, v23
	v_add_lshl_u32 v2, v9, v2, 2
	v_or_b32_sdwa v6, v6, v29 dst_sel:DWORD dst_unused:UNUSED_PAD src0_sel:DWORD src1_sel:WORD_0
	v_cndmask_b32_e32 v2, -1, v2, vcc
	buffer_store_dword v6, v2, s[4:7], s2 offen
	v_lshlrev_b32_e32 v2, 16, v7
	v_add_lshl_u32 v6, v9, v8, 2
	v_add_u32_e32 v7, 40, v0
	v_or_b32_sdwa v2, v2, v35 dst_sel:DWORD dst_unused:UNUSED_PAD src0_sel:DWORD src1_sel:WORD_0
	v_cndmask_b32_e32 v6, -1, v6, vcc
	v_mul_lo_u32 v7, s16, v7
	buffer_store_dword v2, v6, s[4:7], s2 offen
	v_add_u32_e32 v6, 0x50, v0
	v_mul_lo_u32 v6, s16, v6
	v_lshlrev_b32_e32 v2, 16, v3
	v_add_lshl_u32 v3, v9, v7, 2
	v_or_b32_sdwa v2, v2, v42 dst_sel:DWORD dst_unused:UNUSED_PAD src0_sel:DWORD src1_sel:WORD_0
	v_cndmask_b32_e32 v3, -1, v3, vcc
	buffer_store_dword v2, v3, s[4:7], s2 offen
	v_lshlrev_b32_e32 v2, 16, v4
	v_add_lshl_u32 v3, v9, v6, 2
	v_add_u32_e32 v0, 0x78, v0
	v_or_b32_sdwa v2, v2, v26 dst_sel:DWORD dst_unused:UNUSED_PAD src0_sel:DWORD src1_sel:WORD_0
	v_cndmask_b32_e32 v3, -1, v3, vcc
	v_mul_lo_u32 v0, s16, v0
	buffer_store_dword v2, v3, s[4:7], s2 offen
	v_mad_u32_u24 v3, v15, s3, v11
	v_mul_lo_u32 v4, s16, v3
	v_lshlrev_b32_e32 v2, 16, v5
	v_add_lshl_u32 v0, v9, v0, 2
	v_or_b32_sdwa v2, v2, v30 dst_sel:DWORD dst_unused:UNUSED_PAD src0_sel:DWORD src1_sel:WORD_0
	v_cndmask_b32_e32 v0, -1, v0, vcc
	buffer_store_dword v2, v0, s[4:7], s2 offen
	v_add_lshl_u32 v2, v9, v4, 2
	v_add_u32_e32 v4, 40, v3
	v_mul_lo_u32 v4, s16, v4
	v_lshlrev_b32_e32 v0, 16, v17
	v_or_b32_sdwa v0, v0, v33 dst_sel:DWORD dst_unused:UNUSED_PAD src0_sel:DWORD src1_sel:WORD_0
	v_cndmask_b32_e64 v2, -1, v2, s[0:1]
	buffer_store_dword v0, v2, s[4:7], s2 offen
	v_add_lshl_u32 v2, v9, v4, 2
	v_add_u32_e32 v4, 0x50, v3
	v_mul_lo_u32 v4, s16, v4
	v_add_u32_e32 v3, 0x78, v3
	v_lshlrev_b32_e32 v0, 16, v14
	v_mul_lo_u32 v3, s16, v3
	v_or_b32_sdwa v0, v0, v19 dst_sel:DWORD dst_unused:UNUSED_PAD src0_sel:DWORD src1_sel:WORD_0
	v_cndmask_b32_e64 v2, -1, v2, s[0:1]
	buffer_store_dword v0, v2, s[4:7], s2 offen
	v_lshlrev_b32_e32 v0, 16, v18
	v_add_lshl_u32 v2, v9, v4, 2
	v_or_b32_sdwa v0, v0, v25 dst_sel:DWORD dst_unused:UNUSED_PAD src0_sel:DWORD src1_sel:WORD_0
	v_cndmask_b32_e64 v2, -1, v2, s[0:1]
	buffer_store_dword v0, v2, s[4:7], s2 offen
	v_lshlrev_b32_e32 v0, 16, v1
	v_add_lshl_u32 v1, v9, v3, 2
	v_or_b32_sdwa v0, v0, v20 dst_sel:DWORD dst_unused:UNUSED_PAD src0_sel:DWORD src1_sel:WORD_0
	v_cndmask_b32_e64 v1, -1, v1, s[0:1]
	buffer_store_dword v0, v1, s[4:7], s2 offen
	s_endpgm
	.section	.rodata,"a",@progbits
	.p2align	6, 0x0
	.amdhsa_kernel fft_rtc_fwd_len160_factors_4_10_4_wgs_192_tpt_16_half_op_CI_CI_sbcc_twdbase6_3step_dirReg_intrinsicReadWrite
		.amdhsa_group_segment_fixed_size 0
		.amdhsa_private_segment_fixed_size 0
		.amdhsa_kernarg_size 112
		.amdhsa_user_sgpr_count 6
		.amdhsa_user_sgpr_private_segment_buffer 1
		.amdhsa_user_sgpr_dispatch_ptr 0
		.amdhsa_user_sgpr_queue_ptr 0
		.amdhsa_user_sgpr_kernarg_segment_ptr 1
		.amdhsa_user_sgpr_dispatch_id 0
		.amdhsa_user_sgpr_flat_scratch_init 0
		.amdhsa_user_sgpr_private_segment_size 0
		.amdhsa_uses_dynamic_stack 0
		.amdhsa_system_sgpr_private_segment_wavefront_offset 0
		.amdhsa_system_sgpr_workgroup_id_x 1
		.amdhsa_system_sgpr_workgroup_id_y 0
		.amdhsa_system_sgpr_workgroup_id_z 0
		.amdhsa_system_sgpr_workgroup_info 0
		.amdhsa_system_vgpr_workitem_id 0
		.amdhsa_next_free_vgpr 44
		.amdhsa_next_free_sgpr 51
		.amdhsa_reserve_vcc 1
		.amdhsa_reserve_flat_scratch 0
		.amdhsa_float_round_mode_32 0
		.amdhsa_float_round_mode_16_64 0
		.amdhsa_float_denorm_mode_32 3
		.amdhsa_float_denorm_mode_16_64 3
		.amdhsa_dx10_clamp 1
		.amdhsa_ieee_mode 1
		.amdhsa_fp16_overflow 0
		.amdhsa_exception_fp_ieee_invalid_op 0
		.amdhsa_exception_fp_denorm_src 0
		.amdhsa_exception_fp_ieee_div_zero 0
		.amdhsa_exception_fp_ieee_overflow 0
		.amdhsa_exception_fp_ieee_underflow 0
		.amdhsa_exception_fp_ieee_inexact 0
		.amdhsa_exception_int_div_zero 0
	.end_amdhsa_kernel
	.text
.Lfunc_end0:
	.size	fft_rtc_fwd_len160_factors_4_10_4_wgs_192_tpt_16_half_op_CI_CI_sbcc_twdbase6_3step_dirReg_intrinsicReadWrite, .Lfunc_end0-fft_rtc_fwd_len160_factors_4_10_4_wgs_192_tpt_16_half_op_CI_CI_sbcc_twdbase6_3step_dirReg_intrinsicReadWrite
                                        ; -- End function
	.section	.AMDGPU.csdata,"",@progbits
; Kernel info:
; codeLenInByte = 7992
; NumSgprs: 55
; NumVgprs: 44
; ScratchSize: 0
; MemoryBound: 0
; FloatMode: 240
; IeeeMode: 1
; LDSByteSize: 0 bytes/workgroup (compile time only)
; SGPRBlocks: 6
; VGPRBlocks: 10
; NumSGPRsForWavesPerEU: 55
; NumVGPRsForWavesPerEU: 44
; Occupancy: 5
; WaveLimiterHint : 0
; COMPUTE_PGM_RSRC2:SCRATCH_EN: 0
; COMPUTE_PGM_RSRC2:USER_SGPR: 6
; COMPUTE_PGM_RSRC2:TRAP_HANDLER: 0
; COMPUTE_PGM_RSRC2:TGID_X_EN: 1
; COMPUTE_PGM_RSRC2:TGID_Y_EN: 0
; COMPUTE_PGM_RSRC2:TGID_Z_EN: 0
; COMPUTE_PGM_RSRC2:TIDIG_COMP_CNT: 0
	.type	__hip_cuid_8e37579b1103fab5,@object ; @__hip_cuid_8e37579b1103fab5
	.section	.bss,"aw",@nobits
	.globl	__hip_cuid_8e37579b1103fab5
__hip_cuid_8e37579b1103fab5:
	.byte	0                               ; 0x0
	.size	__hip_cuid_8e37579b1103fab5, 1

	.ident	"AMD clang version 19.0.0git (https://github.com/RadeonOpenCompute/llvm-project roc-6.4.0 25133 c7fe45cf4b819c5991fe208aaa96edf142730f1d)"
	.section	".note.GNU-stack","",@progbits
	.addrsig
	.addrsig_sym __hip_cuid_8e37579b1103fab5
	.amdgpu_metadata
---
amdhsa.kernels:
  - .args:
      - .actual_access:  read_only
        .address_space:  global
        .offset:         0
        .size:           8
        .value_kind:     global_buffer
      - .address_space:  global
        .offset:         8
        .size:           8
        .value_kind:     global_buffer
      - .offset:         16
        .size:           8
        .value_kind:     by_value
      - .actual_access:  read_only
        .address_space:  global
        .offset:         24
        .size:           8
        .value_kind:     global_buffer
      - .actual_access:  read_only
        .address_space:  global
        .offset:         32
        .size:           8
        .value_kind:     global_buffer
      - .actual_access:  read_only
        .address_space:  global
        .offset:         40
        .size:           8
        .value_kind:     global_buffer
      - .offset:         48
        .size:           8
        .value_kind:     by_value
      - .actual_access:  read_only
        .address_space:  global
        .offset:         56
        .size:           8
        .value_kind:     global_buffer
      - .actual_access:  read_only
        .address_space:  global
        .offset:         64
        .size:           8
        .value_kind:     global_buffer
      - .offset:         72
        .size:           4
        .value_kind:     by_value
      - .actual_access:  read_only
        .address_space:  global
        .offset:         80
        .size:           8
        .value_kind:     global_buffer
      - .actual_access:  read_only
        .address_space:  global
        .offset:         88
        .size:           8
        .value_kind:     global_buffer
      - .address_space:  global
        .offset:         96
        .size:           8
        .value_kind:     global_buffer
      - .address_space:  global
        .offset:         104
        .size:           8
        .value_kind:     global_buffer
    .group_segment_fixed_size: 0
    .kernarg_segment_align: 8
    .kernarg_segment_size: 112
    .language:       OpenCL C
    .language_version:
      - 2
      - 0
    .max_flat_workgroup_size: 192
    .name:           fft_rtc_fwd_len160_factors_4_10_4_wgs_192_tpt_16_half_op_CI_CI_sbcc_twdbase6_3step_dirReg_intrinsicReadWrite
    .private_segment_fixed_size: 0
    .sgpr_count:     55
    .sgpr_spill_count: 0
    .symbol:         fft_rtc_fwd_len160_factors_4_10_4_wgs_192_tpt_16_half_op_CI_CI_sbcc_twdbase6_3step_dirReg_intrinsicReadWrite.kd
    .uniform_work_group_size: 1
    .uses_dynamic_stack: false
    .vgpr_count:     44
    .vgpr_spill_count: 0
    .wavefront_size: 64
amdhsa.target:   amdgcn-amd-amdhsa--gfx906
amdhsa.version:
  - 1
  - 2
...

	.end_amdgpu_metadata
